;; amdgpu-corpus repo=ROCm/rocFFT kind=compiled arch=gfx906 opt=O3
	.text
	.amdgcn_target "amdgcn-amd-amdhsa--gfx906"
	.amdhsa_code_object_version 6
	.protected	bluestein_single_back_len12_dim1_sp_op_CI_CI ; -- Begin function bluestein_single_back_len12_dim1_sp_op_CI_CI
	.globl	bluestein_single_back_len12_dim1_sp_op_CI_CI
	.p2align	8
	.type	bluestein_single_back_len12_dim1_sp_op_CI_CI,@function
bluestein_single_back_len12_dim1_sp_op_CI_CI: ; @bluestein_single_back_len12_dim1_sp_op_CI_CI
; %bb.0:
	v_mul_u32_u24_e32 v1, 0x2aab, v0
	s_load_dwordx4 s[0:3], s[4:5], 0x28
	v_lshrrev_b32_e32 v1, 16, v1
	v_mad_u64_u32 v[14:15], s[6:7], s6, 21, v[1:2]
	v_mov_b32_e32 v15, 0
	s_waitcnt lgkmcnt(0)
	v_cmp_gt_u64_e32 vcc, s[0:1], v[14:15]
	s_and_saveexec_b64 s[0:1], vcc
	s_cbranch_execz .LBB0_15
; %bb.1:
	s_mov_b32 s0, 0x86186187
	v_mul_hi_u32 v2, v14, s0
	s_load_dwordx2 s[12:13], s[4:5], 0x0
	s_load_dwordx2 s[6:7], s[4:5], 0x38
	v_mul_lo_u16_e32 v1, 6, v1
	v_sub_u16_e32 v18, v0, v1
	v_sub_u32_e32 v3, v14, v2
	v_lshrrev_b32_e32 v3, 1, v3
	v_add_u32_e32 v2, v3, v2
	v_lshrrev_b32_e32 v2, 4, v2
	v_mul_lo_u32 v2, v2, 21
	v_cmp_gt_u16_e32 vcc, 2, v18
	v_lshlrev_b32_e32 v21, 3, v18
	v_or_b32_e32 v19, 2, v18
	v_sub_u32_e32 v0, v14, v2
	v_mul_u32_u24_e32 v22, 12, v0
	v_or_b32_e32 v0, v22, v18
	v_lshlrev_b32_e32 v23, 3, v0
	v_add_lshl_u32 v24, v22, v18, 3
	v_or_b32_e32 v20, 4, v18
	v_or_b32_e32 v17, 6, v18
	;; [unrolled: 1-line block ×4, first 2 shown]
	s_and_saveexec_b64 s[14:15], vcc
	s_cbranch_execz .LBB0_3
; %bb.2:
	s_load_dwordx2 s[0:1], s[4:5], 0x18
	v_mov_b32_e32 v8, s3
	s_waitcnt lgkmcnt(0)
	s_load_dwordx4 s[8:11], s[0:1], 0x0
	global_load_dwordx2 v[12:13], v21, s[12:13]
	global_load_dwordx2 v[25:26], v21, s[12:13] offset:16
	global_load_dwordx2 v[27:28], v21, s[12:13] offset:32
	s_waitcnt lgkmcnt(0)
	v_mad_u64_u32 v[0:1], s[0:1], s10, v14, 0
	v_mad_u64_u32 v[2:3], s[0:1], s8, v18, 0
	;; [unrolled: 1-line block ×5, first 2 shown]
	v_mov_b32_e32 v1, v4
	v_lshlrev_b64 v[0:1], 3, v[0:1]
	v_mov_b32_e32 v3, v5
	v_add_co_u32_e64 v37, s[0:1], s2, v0
	v_mov_b32_e32 v0, v7
	v_addc_co_u32_e64 v38, s[0:1], v8, v1, s[0:1]
	v_mad_u64_u32 v[0:1], s[0:1], s9, v19, v[0:1]
	v_mad_u64_u32 v[4:5], s[0:1], s8, v20, 0
	v_lshlrev_b64 v[2:3], 3, v[2:3]
	v_mov_b32_e32 v7, v0
	v_add_co_u32_e64 v1, s[0:1], v37, v2
	v_mov_b32_e32 v0, v5
	v_addc_co_u32_e64 v2, s[0:1], v38, v3, s[0:1]
	v_mad_u64_u32 v[8:9], s[0:1], s9, v20, v[0:1]
	v_mad_u64_u32 v[9:10], s[0:1], s8, v17, 0
	v_lshlrev_b64 v[6:7], 3, v[6:7]
	v_mov_b32_e32 v5, v8
	v_add_co_u32_e64 v6, s[0:1], v37, v6
	v_mov_b32_e32 v0, v10
	v_addc_co_u32_e64 v7, s[0:1], v38, v7, s[0:1]
	v_mad_u64_u32 v[10:11], s[0:1], s9, v17, v[0:1]
	global_load_dwordx2 v[1:2], v[1:2], off
	v_lshlrev_b64 v[3:4], 3, v[4:5]
	v_lshlrev_b64 v[8:9], 3, v[9:10]
	v_add_co_u32_e64 v3, s[0:1], v37, v3
	v_addc_co_u32_e64 v4, s[0:1], v38, v4, s[0:1]
	global_load_dwordx2 v[3:4], v[3:4], off
	v_add_co_u32_e64 v8, s[0:1], v37, v8
	v_addc_co_u32_e64 v9, s[0:1], v38, v9, s[0:1]
	v_mad_u64_u32 v[10:11], s[0:1], s8, v16, 0
	v_mad_u64_u32 v[29:30], s[0:1], s8, v15, 0
	v_mov_b32_e32 v0, v11
	global_load_dwordx2 v[5:6], v[6:7], off
	s_waitcnt vmcnt(2)
	v_mad_u64_u32 v[31:32], s[0:1], s9, v16, v[0:1]
	v_mov_b32_e32 v0, v30
	v_mad_u64_u32 v[32:33], s[0:1], s9, v15, v[0:1]
	v_mov_b32_e32 v11, v31
	global_load_dwordx2 v[33:34], v[8:9], off
	global_load_dwordx2 v[35:36], v21, s[12:13] offset:48
	v_lshlrev_b64 v[7:8], 3, v[10:11]
	v_mov_b32_e32 v30, v32
	v_add_co_u32_e64 v7, s[0:1], v37, v7
	v_lshlrev_b64 v[9:10], 3, v[29:30]
	v_addc_co_u32_e64 v8, s[0:1], v38, v8, s[0:1]
	global_load_dwordx2 v[29:30], v[7:8], off
	global_load_dwordx2 v[31:32], v21, s[12:13] offset:64
	v_add_co_u32_e64 v7, s[0:1], v37, v9
	v_addc_co_u32_e64 v8, s[0:1], v38, v10, s[0:1]
	global_load_dwordx2 v[9:10], v21, s[12:13] offset:80
	global_load_dwordx2 v[37:38], v[7:8], off
	v_mul_f32_e32 v8, v1, v13
	v_mul_f32_e32 v7, v2, v13
	s_waitcnt vmcnt(6)
	v_mul_f32_e32 v0, v6, v26
	v_mul_f32_e32 v13, v5, v26
	v_fma_f32 v8, v2, v12, -v8
	v_fmac_f32_e32 v7, v1, v12
	v_fmac_f32_e32 v0, v5, v25
	v_mul_f32_e32 v26, v3, v28
	v_mul_f32_e32 v11, v4, v28
	v_fma_f32 v1, v6, v25, -v13
	ds_write_b64 v23, v[7:8]
	ds_write_b64 v24, v[0:1] offset:16
	v_fma_f32 v12, v4, v27, -v26
	v_fmac_f32_e32 v11, v3, v27
	v_lshl_add_u32 v4, v22, 3, v21
	s_waitcnt vmcnt(4)
	v_mul_f32_e32 v2, v33, v36
	v_mul_f32_e32 v0, v34, v36
	v_fma_f32 v1, v34, v35, -v2
	v_fmac_f32_e32 v0, v33, v35
	ds_write2_b64 v4, v[11:12], v[0:1] offset0:4 offset1:6
	s_waitcnt vmcnt(2)
	v_mul_f32_e32 v0, v30, v32
	v_mul_f32_e32 v1, v29, v32
	v_fmac_f32_e32 v0, v29, v31
	v_fma_f32 v1, v30, v31, -v1
	s_waitcnt vmcnt(0)
	v_mul_f32_e32 v2, v38, v10
	v_mul_f32_e32 v3, v37, v10
	v_fmac_f32_e32 v2, v37, v9
	v_fma_f32 v3, v38, v9, -v3
	ds_write2_b64 v4, v[0:1], v[2:3] offset0:8 offset1:10
.LBB0_3:
	s_or_b64 exec, exec, s[14:15]
	s_load_dwordx2 s[0:1], s[4:5], 0x20
	s_load_dwordx2 s[8:9], s[4:5], 0x8
	v_lshlrev_b32_e32 v25, 3, v22
	s_waitcnt lgkmcnt(0)
	s_barrier
	s_waitcnt lgkmcnt(0)
                                        ; implicit-def: $vgpr11
                                        ; implicit-def: $vgpr3
                                        ; implicit-def: $vgpr9
	s_and_saveexec_b64 s[2:3], vcc
	s_cbranch_execz .LBB0_5
; %bb.4:
	v_lshl_add_u32 v4, v18, 3, v25
	ds_read2_b64 v[6:9], v23 offset1:2
	ds_read2_b64 v[0:3], v4 offset0:4 offset1:6
	ds_read2_b64 v[10:13], v4 offset0:8 offset1:10
.LBB0_5:
	s_or_b64 exec, exec, s[2:3]
	s_waitcnt lgkmcnt(1)
	v_add_f32_e32 v4, v0, v6
	s_waitcnt lgkmcnt(0)
	v_add_f32_e32 v26, v10, v4
	v_add_f32_e32 v4, v10, v0
	v_fmac_f32_e32 v6, -0.5, v4
	v_sub_f32_e32 v4, v1, v11
	v_mov_b32_e32 v28, v6
	v_fmac_f32_e32 v28, 0x3f5db3d7, v4
	v_fmac_f32_e32 v6, 0xbf5db3d7, v4
	v_add_f32_e32 v4, v1, v7
	v_add_f32_e32 v1, v11, v1
	v_fmac_f32_e32 v7, -0.5, v1
	v_sub_f32_e32 v0, v0, v10
	v_mov_b32_e32 v10, v7
	v_fmac_f32_e32 v10, 0xbf5db3d7, v0
	v_fmac_f32_e32 v7, 0x3f5db3d7, v0
	v_add_f32_e32 v0, v2, v8
	v_add_f32_e32 v29, v11, v4
	;; [unrolled: 1-line block ×4, first 2 shown]
	v_fmac_f32_e32 v8, -0.5, v0
	v_sub_f32_e32 v0, v3, v13
	v_mov_b32_e32 v1, v8
	v_fmac_f32_e32 v1, 0x3f5db3d7, v0
	v_fmac_f32_e32 v8, 0xbf5db3d7, v0
	v_add_f32_e32 v0, v3, v9
	v_add_f32_e32 v30, v0, v13
	;; [unrolled: 1-line block ×3, first 2 shown]
	v_fmac_f32_e32 v9, -0.5, v0
	v_sub_f32_e32 v0, v2, v12
	v_mov_b32_e32 v2, v9
	v_fmac_f32_e32 v2, 0xbf5db3d7, v0
	v_fmac_f32_e32 v9, 0x3f5db3d7, v0
	v_mul_f32_e32 v3, -0.5, v8
	v_mul_f32_e32 v12, 0x3f5db3d7, v2
	v_fmac_f32_e32 v3, 0x3f5db3d7, v9
	v_mul_f32_e32 v13, 0xbf5db3d7, v1
	v_mul_f32_e32 v9, -0.5, v9
	v_fmac_f32_e32 v12, 0.5, v1
	v_fmac_f32_e32 v13, 0.5, v2
	v_fmac_f32_e32 v9, 0xbf5db3d7, v8
	v_add_f32_e32 v0, v6, v3
	v_add_f32_e32 v1, v7, v9
	v_sub_f32_e32 v2, v26, v11
	v_sub_f32_e32 v4, v28, v12
	;; [unrolled: 1-line block ×6, first 2 shown]
	v_mul_lo_u16_e32 v27, 6, v18
	s_barrier
	s_and_saveexec_b64 s[2:3], vcc
	s_cbranch_execz .LBB0_7
; %bb.6:
	v_add_f32_e32 v31, v10, v13
	v_add_f32_e32 v29, v30, v29
	;; [unrolled: 1-line block ×4, first 2 shown]
	v_add_lshl_u32 v8, v22, v27, 3
	ds_write_b128 v8, v[28:31]
	ds_write_b128 v8, v[0:3] offset:16
	ds_write_b128 v8, v[4:7] offset:32
.LBB0_7:
	s_or_b64 exec, exec, s[2:3]
	s_load_dwordx4 s[0:3], s[0:1], 0x0
	s_waitcnt lgkmcnt(0)
	s_barrier
	global_load_dwordx2 v[12:13], v21, s[8:9]
	ds_read2_b64 v[8:11], v24 offset1:6
	v_lshl_add_u32 v26, v18, 3, v25
	s_waitcnt vmcnt(0) lgkmcnt(0)
	v_mul_f32_e32 v28, v11, v13
	v_mul_f32_e32 v29, v10, v13
	v_fma_f32 v10, v10, v12, -v28
	v_fmac_f32_e32 v29, v11, v12
	v_sub_f32_e32 v10, v8, v10
	v_sub_f32_e32 v11, v9, v29
	v_fma_f32 v8, v8, 2.0, -v10
	v_fma_f32 v9, v9, 2.0, -v11
	ds_write2_b64 v26, v[8:9], v[10:11] offset1:6
	s_waitcnt lgkmcnt(0)
	s_barrier
	s_and_saveexec_b64 s[4:5], vcc
	s_cbranch_execz .LBB0_9
; %bb.8:
	global_load_dwordx2 v[28:29], v21, s[12:13] offset:96
	s_add_u32 s8, s12, 0x60
	s_addc_u32 s9, s13, 0
	global_load_dwordx2 v[30:31], v21, s[8:9] offset:16
	global_load_dwordx2 v[36:37], v21, s[8:9] offset:32
	;; [unrolled: 1-line block ×5, first 2 shown]
	ds_read_b64 v[32:33], v23
	s_waitcnt vmcnt(5) lgkmcnt(0)
	v_mul_f32_e32 v34, v33, v29
	v_mul_f32_e32 v35, v32, v29
	v_fma_f32 v34, v32, v28, -v34
	v_fmac_f32_e32 v35, v33, v28
	ds_write_b64 v23, v[34:35]
	ds_read_b64 v[28:29], v24 offset:16
	s_waitcnt vmcnt(4) lgkmcnt(0)
	v_mul_f32_e32 v33, v29, v31
	v_mul_f32_e32 v32, v28, v31
	v_fma_f32 v31, v28, v30, -v33
	v_fmac_f32_e32 v32, v29, v30
	ds_write_b64 v24, v[31:32] offset:16
	ds_read2_b64 v[28:31], v26 offset0:4 offset1:6
	ds_read2_b64 v[32:35], v26 offset0:8 offset1:10
	s_waitcnt vmcnt(3) lgkmcnt(1)
	v_mul_f32_e32 v45, v29, v37
	v_mul_f32_e32 v44, v28, v37
	s_waitcnt vmcnt(2)
	v_mul_f32_e32 v46, v31, v39
	v_mul_f32_e32 v37, v30, v39
	s_waitcnt vmcnt(1) lgkmcnt(0)
	v_mul_f32_e32 v47, v33, v41
	v_mul_f32_e32 v39, v32, v41
	s_waitcnt vmcnt(0)
	v_mul_f32_e32 v48, v35, v43
	v_mul_f32_e32 v41, v34, v43
	v_fma_f32 v43, v28, v36, -v45
	v_fmac_f32_e32 v44, v29, v36
	v_fma_f32 v36, v30, v38, -v46
	v_fmac_f32_e32 v37, v31, v38
	;; [unrolled: 2-line block ×4, first 2 shown]
	ds_write2_b64 v26, v[43:44], v[36:37] offset0:4 offset1:6
	ds_write2_b64 v26, v[38:39], v[40:41] offset0:8 offset1:10
.LBB0_9:
	s_or_b64 exec, exec, s[4:5]
	s_waitcnt lgkmcnt(0)
	s_barrier
	s_and_saveexec_b64 s[4:5], vcc
	s_cbranch_execz .LBB0_11
; %bb.10:
	ds_read2_b64 v[8:11], v23 offset1:2
	ds_read2_b64 v[0:3], v26 offset0:4 offset1:6
	ds_read2_b64 v[4:7], v26 offset0:8 offset1:10
.LBB0_11:
	s_or_b64 exec, exec, s[4:5]
	s_waitcnt lgkmcnt(0)
	s_barrier
	s_and_saveexec_b64 s[4:5], vcc
	s_cbranch_execz .LBB0_13
; %bb.12:
	v_add_f32_e32 v29, v2, v6
	v_add_f32_e32 v31, v3, v7
	;; [unrolled: 1-line block ×3, first 2 shown]
	v_fma_f32 v34, -0.5, v29, v10
	v_sub_f32_e32 v29, v3, v7
	v_fma_f32 v35, -0.5, v31, v11
	v_sub_f32_e32 v36, v2, v6
	v_add_f32_e32 v3, v3, v11
	v_fma_f32 v32, -0.5, v28, v9
	v_sub_f32_e32 v28, v0, v4
	v_mov_b32_e32 v37, v35
	v_fmac_f32_e32 v35, 0x3f5db3d7, v36
	v_add_f32_e32 v11, v3, v7
	v_add_f32_e32 v7, v4, v0
	;; [unrolled: 1-line block ×3, first 2 shown]
	v_mov_b32_e32 v30, v34
	v_fmac_f32_e32 v37, 0xbf5db3d7, v36
	v_fmac_f32_e32 v34, 0xbf5db3d7, v29
	v_mul_f32_e32 v36, 0.5, v35
	v_add_f32_e32 v9, v1, v9
	v_fma_f32 v39, -0.5, v7, v8
	v_sub_f32_e32 v1, v1, v5
	v_mul_f32_e32 v35, 0xbf5db3d7, v35
	v_add_f32_e32 v4, v4, v0
	v_add_f32_e32 v0, v2, v10
	v_mov_b32_e32 v33, v32
	v_fmac_f32_e32 v30, 0x3f5db3d7, v29
	v_mul_f32_e32 v38, -0.5, v37
	v_fmac_f32_e32 v32, 0x3f5db3d7, v28
	v_fmac_f32_e32 v36, 0x3f5db3d7, v34
	v_add_f32_e32 v9, v5, v9
	v_mov_b32_e32 v40, v39
	v_mul_f32_e32 v37, 0xbf5db3d7, v37
	v_fmac_f32_e32 v39, 0xbf5db3d7, v1
	v_fmac_f32_e32 v35, 0.5, v34
	v_add_f32_e32 v8, v0, v6
	v_fmac_f32_e32 v33, 0xbf5db3d7, v28
	v_fmac_f32_e32 v38, 0x3f5db3d7, v30
	;; [unrolled: 1-line block ×3, first 2 shown]
	v_fmac_f32_e32 v37, -0.5, v30
	v_sub_f32_e32 v2, v4, v8
	v_add_f32_e32 v7, v32, v36
	v_add_f32_e32 v5, v11, v9
	;; [unrolled: 1-line block ×4, first 2 shown]
	v_lshl_add_u32 v8, v27, 3, v25
	v_sub_f32_e32 v31, v33, v38
	v_sub_f32_e32 v29, v32, v36
	;; [unrolled: 1-line block ×5, first 2 shown]
	v_add_f32_e32 v1, v33, v38
	v_add_f32_e32 v0, v40, v37
	ds_write_b128 v8, v[4:7]
	ds_write_b128 v8, v[0:3] offset:16
	ds_write_b128 v8, v[28:31] offset:32
.LBB0_13:
	s_or_b64 exec, exec, s[4:5]
	s_waitcnt lgkmcnt(0)
	s_barrier
	ds_read2_b64 v[0:3], v24 offset1:6
	s_waitcnt lgkmcnt(0)
	v_mul_f32_e32 v4, v13, v3
	v_mul_f32_e32 v5, v13, v2
	v_fmac_f32_e32 v4, v12, v2
	v_fma_f32 v3, v12, v3, -v5
	v_sub_f32_e32 v2, v0, v4
	v_sub_f32_e32 v3, v1, v3
	v_fma_f32 v0, v0, 2.0, -v2
	v_fma_f32 v1, v1, 2.0, -v3
	ds_write2_b64 v26, v[0:1], v[2:3] offset1:6
	s_waitcnt lgkmcnt(0)
	s_barrier
	s_and_b64 exec, exec, vcc
	s_cbranch_execz .LBB0_15
; %bb.14:
	global_load_dwordx2 v[8:9], v21, s[12:13]
	global_load_dwordx2 v[10:11], v21, s[12:13] offset:16
	global_load_dwordx2 v[12:13], v21, s[12:13] offset:32
	;; [unrolled: 1-line block ×3, first 2 shown]
	ds_read_b64 v[29:30], v23
	ds_read_b64 v[33:34], v26 offset:16
	global_load_dwordx2 v[37:38], v21, s[12:13] offset:64
	global_load_dwordx2 v[39:40], v21, s[12:13] offset:80
	v_mad_u64_u32 v[27:28], s[4:5], s2, v14, 0
	v_mad_u64_u32 v[31:32], s[8:9], s0, v18, 0
	v_mad_u64_u32 v[35:36], s[8:9], s0, v19, 0
	v_lshl_add_u32 v4, v22, 3, v21
	v_mad_u64_u32 v[22:23], s[8:9], s0, v20, 0
	v_mov_b32_e32 v21, v28
	v_mov_b32_e32 v26, v32
	;; [unrolled: 1-line block ×3, first 2 shown]
	v_mad_u64_u32 v[41:42], s[2:3], s3, v14, v[21:22]
	v_mad_u64_u32 v[42:43], s[2:3], s1, v18, v[26:27]
	s_waitcnt lgkmcnt(1)
	v_mad_u64_u32 v[18:19], s[2:3], s1, v19, v[28:29]
	v_mov_b32_e32 v28, v41
	v_mov_b32_e32 v32, v42
	;; [unrolled: 1-line block ×4, first 2 shown]
	ds_read2_b64 v[0:3], v4 offset0:4 offset1:6
	ds_read2_b64 v[4:7], v4 offset0:8 offset1:10
	s_mov_b32 s4, 0x55555555
	s_mov_b32 s5, 0x3fb55555
	s_waitcnt vmcnt(2)
	v_mad_u64_u32 v[19:20], s[2:3], s1, v20, v[23:24]
	v_lshlrev_b64 v[20:21], 3, v[31:32]
	s_waitcnt lgkmcnt(1)
	v_mul_f32_e32 v32, v3, v25
	v_mov_b32_e32 v23, v19
	v_lshlrev_b64 v[18:19], 3, v[27:28]
	v_lshlrev_b64 v[26:27], 3, v[35:36]
	v_add_co_u32_e32 v14, vcc, s6, v18
	v_addc_co_u32_e32 v31, vcc, v44, v19, vcc
	v_add_co_u32_e32 v18, vcc, v14, v20
	v_addc_co_u32_e32 v19, vcc, v31, v21, vcc
	v_add_co_u32_e32 v20, vcc, v14, v26
	v_mul_f32_e32 v26, v30, v9
	v_mul_f32_e32 v9, v29, v9
	v_addc_co_u32_e32 v21, vcc, v31, v27, vcc
	v_mul_f32_e32 v27, v34, v11
	v_mul_f32_e32 v11, v33, v11
	;; [unrolled: 1-line block ×5, first 2 shown]
	v_fmac_f32_e32 v26, v29, v8
	v_fma_f32 v8, v8, v30, -v9
	v_fmac_f32_e32 v27, v33, v10
	v_fma_f32 v10, v10, v34, -v11
	;; [unrolled: 2-line block ×4, first 2 shown]
	v_cvt_f64_f32_e32 v[0:1], v26
	v_cvt_f64_f32_e32 v[2:3], v8
	;; [unrolled: 1-line block ×7, first 2 shown]
	v_mul_f64 v[0:1], v[0:1], s[4:5]
	v_mul_f64 v[2:3], v[2:3], s[4:5]
	;; [unrolled: 1-line block ×7, first 2 shown]
	v_lshlrev_b64 v[22:23], 3, v[22:23]
	v_cvt_f32_f64_e32 v0, v[0:1]
	v_cvt_f32_f64_e32 v1, v[2:3]
	;; [unrolled: 1-line block ×6, first 2 shown]
	global_store_dwordx2 v[18:19], v[0:1], off
	global_store_dwordx2 v[20:21], v[2:3], off
	v_mad_u64_u32 v[0:1], s[2:3], s0, v17, 0
	v_cvt_f32_f64_e32 v2, v[26:27]
	v_add_co_u32_e32 v22, vcc, v14, v22
	v_cvt_f64_f32_e32 v[28:29], v30
	v_addc_co_u32_e32 v23, vcc, v31, v23, vcc
	global_store_dwordx2 v[22:23], v[8:9], off
	v_mad_u64_u32 v[8:9], s[2:3], s1, v17, v[1:2]
	s_waitcnt vmcnt(4) lgkmcnt(0)
	v_mul_f32_e32 v1, v5, v38
	v_fmac_f32_e32 v1, v4, v37
	v_mul_f64 v[28:29], v[28:29], s[4:5]
	v_cvt_f64_f32_e32 v[9:10], v1
	v_mul_f32_e32 v1, v4, v38
	v_fma_f32 v1, v37, v5, -v1
	v_cvt_f64_f32_e32 v[4:5], v1
	v_mov_b32_e32 v1, v8
	v_lshlrev_b64 v[0:1], 3, v[0:1]
	v_mul_f64 v[8:9], v[9:10], s[4:5]
	v_mul_f64 v[4:5], v[4:5], s[4:5]
	v_cvt_f32_f64_e32 v3, v[28:29]
	v_mad_u64_u32 v[10:11], s[2:3], s0, v16, 0
	v_add_co_u32_e32 v0, vcc, v14, v0
	v_addc_co_u32_e32 v1, vcc, v31, v1, vcc
	global_store_dwordx2 v[0:1], v[2:3], off
	v_mov_b32_e32 v2, v11
	v_mad_u64_u32 v[2:3], s[2:3], s1, v16, v[2:3]
	v_cvt_f32_f64_e32 v1, v[4:5]
	s_waitcnt vmcnt(4)
	v_mul_f32_e32 v3, v7, v40
	v_mul_f32_e32 v5, v6, v40
	v_fmac_f32_e32 v3, v6, v39
	v_fma_f32 v5, v39, v7, -v5
	v_cvt_f64_f32_e32 v[3:4], v3
	v_cvt_f64_f32_e32 v[5:6], v5
	v_mov_b32_e32 v11, v2
	v_cvt_f32_f64_e32 v0, v[8:9]
	v_lshlrev_b64 v[7:8], 3, v[10:11]
	v_mad_u64_u32 v[9:10], s[2:3], s0, v15, 0
	v_mul_f64 v[2:3], v[3:4], s[4:5]
	v_mul_f64 v[4:5], v[5:6], s[4:5]
	v_add_co_u32_e32 v6, vcc, v14, v7
	v_addc_co_u32_e32 v7, vcc, v31, v8, vcc
	v_mov_b32_e32 v8, v10
	v_mad_u64_u32 v[10:11], s[0:1], s1, v15, v[8:9]
	global_store_dwordx2 v[6:7], v[0:1], off
	v_cvt_f32_f64_e32 v0, v[2:3]
	v_cvt_f32_f64_e32 v1, v[4:5]
	v_lshlrev_b64 v[2:3], 3, v[9:10]
	v_add_co_u32_e32 v2, vcc, v14, v2
	v_addc_co_u32_e32 v3, vcc, v31, v3, vcc
	global_store_dwordx2 v[2:3], v[0:1], off
.LBB0_15:
	s_endpgm
	.section	.rodata,"a",@progbits
	.p2align	6, 0x0
	.amdhsa_kernel bluestein_single_back_len12_dim1_sp_op_CI_CI
		.amdhsa_group_segment_fixed_size 2016
		.amdhsa_private_segment_fixed_size 0
		.amdhsa_kernarg_size 104
		.amdhsa_user_sgpr_count 6
		.amdhsa_user_sgpr_private_segment_buffer 1
		.amdhsa_user_sgpr_dispatch_ptr 0
		.amdhsa_user_sgpr_queue_ptr 0
		.amdhsa_user_sgpr_kernarg_segment_ptr 1
		.amdhsa_user_sgpr_dispatch_id 0
		.amdhsa_user_sgpr_flat_scratch_init 0
		.amdhsa_user_sgpr_private_segment_size 0
		.amdhsa_uses_dynamic_stack 0
		.amdhsa_system_sgpr_private_segment_wavefront_offset 0
		.amdhsa_system_sgpr_workgroup_id_x 1
		.amdhsa_system_sgpr_workgroup_id_y 0
		.amdhsa_system_sgpr_workgroup_id_z 0
		.amdhsa_system_sgpr_workgroup_info 0
		.amdhsa_system_vgpr_workitem_id 0
		.amdhsa_next_free_vgpr 49
		.amdhsa_next_free_sgpr 16
		.amdhsa_reserve_vcc 1
		.amdhsa_reserve_flat_scratch 0
		.amdhsa_float_round_mode_32 0
		.amdhsa_float_round_mode_16_64 0
		.amdhsa_float_denorm_mode_32 3
		.amdhsa_float_denorm_mode_16_64 3
		.amdhsa_dx10_clamp 1
		.amdhsa_ieee_mode 1
		.amdhsa_fp16_overflow 0
		.amdhsa_exception_fp_ieee_invalid_op 0
		.amdhsa_exception_fp_denorm_src 0
		.amdhsa_exception_fp_ieee_div_zero 0
		.amdhsa_exception_fp_ieee_overflow 0
		.amdhsa_exception_fp_ieee_underflow 0
		.amdhsa_exception_fp_ieee_inexact 0
		.amdhsa_exception_int_div_zero 0
	.end_amdhsa_kernel
	.text
.Lfunc_end0:
	.size	bluestein_single_back_len12_dim1_sp_op_CI_CI, .Lfunc_end0-bluestein_single_back_len12_dim1_sp_op_CI_CI
                                        ; -- End function
	.section	.AMDGPU.csdata,"",@progbits
; Kernel info:
; codeLenInByte = 2796
; NumSgprs: 20
; NumVgprs: 49
; ScratchSize: 0
; MemoryBound: 0
; FloatMode: 240
; IeeeMode: 1
; LDSByteSize: 2016 bytes/workgroup (compile time only)
; SGPRBlocks: 2
; VGPRBlocks: 12
; NumSGPRsForWavesPerEU: 20
; NumVGPRsForWavesPerEU: 49
; Occupancy: 4
; WaveLimiterHint : 1
; COMPUTE_PGM_RSRC2:SCRATCH_EN: 0
; COMPUTE_PGM_RSRC2:USER_SGPR: 6
; COMPUTE_PGM_RSRC2:TRAP_HANDLER: 0
; COMPUTE_PGM_RSRC2:TGID_X_EN: 1
; COMPUTE_PGM_RSRC2:TGID_Y_EN: 0
; COMPUTE_PGM_RSRC2:TGID_Z_EN: 0
; COMPUTE_PGM_RSRC2:TIDIG_COMP_CNT: 0
	.type	__hip_cuid_4bb345bfad80a02e,@object ; @__hip_cuid_4bb345bfad80a02e
	.section	.bss,"aw",@nobits
	.globl	__hip_cuid_4bb345bfad80a02e
__hip_cuid_4bb345bfad80a02e:
	.byte	0                               ; 0x0
	.size	__hip_cuid_4bb345bfad80a02e, 1

	.ident	"AMD clang version 19.0.0git (https://github.com/RadeonOpenCompute/llvm-project roc-6.4.0 25133 c7fe45cf4b819c5991fe208aaa96edf142730f1d)"
	.section	".note.GNU-stack","",@progbits
	.addrsig
	.addrsig_sym __hip_cuid_4bb345bfad80a02e
	.amdgpu_metadata
---
amdhsa.kernels:
  - .args:
      - .actual_access:  read_only
        .address_space:  global
        .offset:         0
        .size:           8
        .value_kind:     global_buffer
      - .actual_access:  read_only
        .address_space:  global
        .offset:         8
        .size:           8
        .value_kind:     global_buffer
      - .actual_access:  read_only
        .address_space:  global
        .offset:         16
        .size:           8
        .value_kind:     global_buffer
      - .actual_access:  read_only
        .address_space:  global
        .offset:         24
        .size:           8
        .value_kind:     global_buffer
      - .actual_access:  read_only
        .address_space:  global
        .offset:         32
        .size:           8
        .value_kind:     global_buffer
      - .offset:         40
        .size:           8
        .value_kind:     by_value
      - .address_space:  global
        .offset:         48
        .size:           8
        .value_kind:     global_buffer
      - .address_space:  global
        .offset:         56
        .size:           8
        .value_kind:     global_buffer
      - .address_space:  global
        .offset:         64
        .size:           8
        .value_kind:     global_buffer
      - .address_space:  global
        .offset:         72
        .size:           8
        .value_kind:     global_buffer
      - .offset:         80
        .size:           4
        .value_kind:     by_value
      - .address_space:  global
        .offset:         88
        .size:           8
        .value_kind:     global_buffer
      - .address_space:  global
        .offset:         96
        .size:           8
        .value_kind:     global_buffer
    .group_segment_fixed_size: 2016
    .kernarg_segment_align: 8
    .kernarg_segment_size: 104
    .language:       OpenCL C
    .language_version:
      - 2
      - 0
    .max_flat_workgroup_size: 126
    .name:           bluestein_single_back_len12_dim1_sp_op_CI_CI
    .private_segment_fixed_size: 0
    .sgpr_count:     20
    .sgpr_spill_count: 0
    .symbol:         bluestein_single_back_len12_dim1_sp_op_CI_CI.kd
    .uniform_work_group_size: 1
    .uses_dynamic_stack: false
    .vgpr_count:     49
    .vgpr_spill_count: 0
    .wavefront_size: 64
amdhsa.target:   amdgcn-amd-amdhsa--gfx906
amdhsa.version:
  - 1
  - 2
...

	.end_amdgpu_metadata
